;; amdgpu-corpus repo=ROCm/rocFFT kind=compiled arch=gfx1201 opt=O3
	.text
	.amdgcn_target "amdgcn-amd-amdhsa--gfx1201"
	.amdhsa_code_object_version 6
	.protected	fft_rtc_fwd_len1792_factors_4_4_4_4_7_wgs_224_tpt_224_halfLds_dp_op_CI_CI_unitstride_sbrr_R2C_dirReg ; -- Begin function fft_rtc_fwd_len1792_factors_4_4_4_4_7_wgs_224_tpt_224_halfLds_dp_op_CI_CI_unitstride_sbrr_R2C_dirReg
	.globl	fft_rtc_fwd_len1792_factors_4_4_4_4_7_wgs_224_tpt_224_halfLds_dp_op_CI_CI_unitstride_sbrr_R2C_dirReg
	.p2align	8
	.type	fft_rtc_fwd_len1792_factors_4_4_4_4_7_wgs_224_tpt_224_halfLds_dp_op_CI_CI_unitstride_sbrr_R2C_dirReg,@function
fft_rtc_fwd_len1792_factors_4_4_4_4_7_wgs_224_tpt_224_halfLds_dp_op_CI_CI_unitstride_sbrr_R2C_dirReg: ; @fft_rtc_fwd_len1792_factors_4_4_4_4_7_wgs_224_tpt_224_halfLds_dp_op_CI_CI_unitstride_sbrr_R2C_dirReg
; %bb.0:
	s_clause 0x2
	s_load_b128 s[8:11], s[0:1], 0x0
	s_load_b128 s[4:7], s[0:1], 0x58
	;; [unrolled: 1-line block ×3, first 2 shown]
	v_mul_u32_u24_e32 v1, 0x125, v0
	v_mov_b32_e32 v3, 0
	s_delay_alu instid0(VALU_DEP_2) | instskip(NEXT) | instid1(VALU_DEP_1)
	v_lshrrev_b32_e32 v1, 16, v1
	v_add_nc_u32_e32 v5, ttmp9, v1
	v_mov_b32_e32 v1, 0
	v_mov_b32_e32 v2, 0
	;; [unrolled: 1-line block ×3, first 2 shown]
	s_wait_kmcnt 0x0
	v_cmp_lt_u64_e64 s2, s[10:11], 2
	s_delay_alu instid0(VALU_DEP_1)
	s_and_b32 vcc_lo, exec_lo, s2
	s_cbranch_vccnz .LBB0_8
; %bb.1:
	s_load_b64 s[2:3], s[0:1], 0x10
	v_mov_b32_e32 v1, 0
	v_mov_b32_e32 v2, 0
	s_add_nc_u64 s[16:17], s[14:15], 8
	s_add_nc_u64 s[18:19], s[12:13], 8
	s_mov_b64 s[20:21], 1
	s_delay_alu instid0(VALU_DEP_1)
	v_dual_mov_b32 v57, v2 :: v_dual_mov_b32 v56, v1
	s_wait_kmcnt 0x0
	s_add_nc_u64 s[22:23], s[2:3], 8
	s_mov_b32 s3, 0
.LBB0_2:                                ; =>This Inner Loop Header: Depth=1
	s_load_b64 s[24:25], s[22:23], 0x0
                                        ; implicit-def: $vgpr60_vgpr61
	s_mov_b32 s2, exec_lo
	s_wait_kmcnt 0x0
	v_or_b32_e32 v4, s25, v6
	s_delay_alu instid0(VALU_DEP_1)
	v_cmpx_ne_u64_e32 0, v[3:4]
	s_wait_alu 0xfffe
	s_xor_b32 s26, exec_lo, s2
	s_cbranch_execz .LBB0_4
; %bb.3:                                ;   in Loop: Header=BB0_2 Depth=1
	s_cvt_f32_u32 s2, s24
	s_cvt_f32_u32 s27, s25
	s_sub_nc_u64 s[30:31], 0, s[24:25]
	s_wait_alu 0xfffe
	s_delay_alu instid0(SALU_CYCLE_1) | instskip(SKIP_1) | instid1(SALU_CYCLE_2)
	s_fmamk_f32 s2, s27, 0x4f800000, s2
	s_wait_alu 0xfffe
	v_s_rcp_f32 s2, s2
	s_delay_alu instid0(TRANS32_DEP_1) | instskip(SKIP_1) | instid1(SALU_CYCLE_2)
	s_mul_f32 s2, s2, 0x5f7ffffc
	s_wait_alu 0xfffe
	s_mul_f32 s27, s2, 0x2f800000
	s_wait_alu 0xfffe
	s_delay_alu instid0(SALU_CYCLE_2) | instskip(SKIP_1) | instid1(SALU_CYCLE_2)
	s_trunc_f32 s27, s27
	s_wait_alu 0xfffe
	s_fmamk_f32 s2, s27, 0xcf800000, s2
	s_cvt_u32_f32 s29, s27
	s_wait_alu 0xfffe
	s_delay_alu instid0(SALU_CYCLE_1) | instskip(SKIP_1) | instid1(SALU_CYCLE_2)
	s_cvt_u32_f32 s28, s2
	s_wait_alu 0xfffe
	s_mul_u64 s[34:35], s[30:31], s[28:29]
	s_wait_alu 0xfffe
	s_mul_hi_u32 s37, s28, s35
	s_mul_i32 s36, s28, s35
	s_mul_hi_u32 s2, s28, s34
	s_mul_i32 s33, s29, s34
	s_wait_alu 0xfffe
	s_add_nc_u64 s[36:37], s[2:3], s[36:37]
	s_mul_hi_u32 s27, s29, s34
	s_mul_hi_u32 s38, s29, s35
	s_add_co_u32 s2, s36, s33
	s_wait_alu 0xfffe
	s_add_co_ci_u32 s2, s37, s27
	s_mul_i32 s34, s29, s35
	s_add_co_ci_u32 s35, s38, 0
	s_wait_alu 0xfffe
	s_add_nc_u64 s[34:35], s[2:3], s[34:35]
	s_wait_alu 0xfffe
	v_add_co_u32 v4, s2, s28, s34
	s_delay_alu instid0(VALU_DEP_1) | instskip(SKIP_1) | instid1(VALU_DEP_1)
	s_cmp_lg_u32 s2, 0
	s_add_co_ci_u32 s29, s29, s35
	v_readfirstlane_b32 s28, v4
	s_wait_alu 0xfffe
	s_delay_alu instid0(VALU_DEP_1)
	s_mul_u64 s[30:31], s[30:31], s[28:29]
	s_wait_alu 0xfffe
	s_mul_hi_u32 s35, s28, s31
	s_mul_i32 s34, s28, s31
	s_mul_hi_u32 s2, s28, s30
	s_mul_i32 s33, s29, s30
	s_wait_alu 0xfffe
	s_add_nc_u64 s[34:35], s[2:3], s[34:35]
	s_mul_hi_u32 s27, s29, s30
	s_mul_hi_u32 s28, s29, s31
	s_wait_alu 0xfffe
	s_add_co_u32 s2, s34, s33
	s_add_co_ci_u32 s2, s35, s27
	s_mul_i32 s30, s29, s31
	s_add_co_ci_u32 s31, s28, 0
	s_wait_alu 0xfffe
	s_add_nc_u64 s[30:31], s[2:3], s[30:31]
	s_wait_alu 0xfffe
	v_add_co_u32 v4, s2, v4, s30
	s_delay_alu instid0(VALU_DEP_1) | instskip(SKIP_1) | instid1(VALU_DEP_1)
	s_cmp_lg_u32 s2, 0
	s_add_co_ci_u32 s2, s29, s31
	v_mul_hi_u32 v13, v5, v4
	s_wait_alu 0xfffe
	v_mad_co_u64_u32 v[7:8], null, v5, s2, 0
	v_mad_co_u64_u32 v[9:10], null, v6, v4, 0
	;; [unrolled: 1-line block ×3, first 2 shown]
	s_delay_alu instid0(VALU_DEP_3) | instskip(SKIP_1) | instid1(VALU_DEP_4)
	v_add_co_u32 v4, vcc_lo, v13, v7
	s_wait_alu 0xfffd
	v_add_co_ci_u32_e32 v7, vcc_lo, 0, v8, vcc_lo
	s_delay_alu instid0(VALU_DEP_2) | instskip(SKIP_1) | instid1(VALU_DEP_2)
	v_add_co_u32 v4, vcc_lo, v4, v9
	s_wait_alu 0xfffd
	v_add_co_ci_u32_e32 v4, vcc_lo, v7, v10, vcc_lo
	s_wait_alu 0xfffd
	v_add_co_ci_u32_e32 v7, vcc_lo, 0, v12, vcc_lo
	s_delay_alu instid0(VALU_DEP_2) | instskip(SKIP_1) | instid1(VALU_DEP_2)
	v_add_co_u32 v4, vcc_lo, v4, v11
	s_wait_alu 0xfffd
	v_add_co_ci_u32_e32 v9, vcc_lo, 0, v7, vcc_lo
	s_delay_alu instid0(VALU_DEP_2) | instskip(SKIP_1) | instid1(VALU_DEP_3)
	v_mul_lo_u32 v10, s25, v4
	v_mad_co_u64_u32 v[7:8], null, s24, v4, 0
	v_mul_lo_u32 v11, s24, v9
	s_delay_alu instid0(VALU_DEP_2) | instskip(NEXT) | instid1(VALU_DEP_2)
	v_sub_co_u32 v7, vcc_lo, v5, v7
	v_add3_u32 v8, v8, v11, v10
	s_delay_alu instid0(VALU_DEP_1) | instskip(SKIP_1) | instid1(VALU_DEP_1)
	v_sub_nc_u32_e32 v10, v6, v8
	s_wait_alu 0xfffd
	v_subrev_co_ci_u32_e64 v10, s2, s25, v10, vcc_lo
	v_add_co_u32 v11, s2, v4, 2
	s_wait_alu 0xf1ff
	v_add_co_ci_u32_e64 v12, s2, 0, v9, s2
	v_sub_co_u32 v13, s2, v7, s24
	v_sub_co_ci_u32_e32 v8, vcc_lo, v6, v8, vcc_lo
	s_wait_alu 0xf1ff
	v_subrev_co_ci_u32_e64 v10, s2, 0, v10, s2
	s_delay_alu instid0(VALU_DEP_3) | instskip(NEXT) | instid1(VALU_DEP_3)
	v_cmp_le_u32_e32 vcc_lo, s24, v13
	v_cmp_eq_u32_e64 s2, s25, v8
	s_wait_alu 0xfffd
	v_cndmask_b32_e64 v13, 0, -1, vcc_lo
	v_cmp_le_u32_e32 vcc_lo, s25, v10
	s_wait_alu 0xfffd
	v_cndmask_b32_e64 v14, 0, -1, vcc_lo
	v_cmp_le_u32_e32 vcc_lo, s24, v7
	;; [unrolled: 3-line block ×3, first 2 shown]
	s_wait_alu 0xfffd
	v_cndmask_b32_e64 v15, 0, -1, vcc_lo
	v_cmp_eq_u32_e32 vcc_lo, s25, v10
	s_wait_alu 0xf1ff
	s_delay_alu instid0(VALU_DEP_2)
	v_cndmask_b32_e64 v7, v15, v7, s2
	s_wait_alu 0xfffd
	v_cndmask_b32_e32 v10, v14, v13, vcc_lo
	v_add_co_u32 v13, vcc_lo, v4, 1
	s_wait_alu 0xfffd
	v_add_co_ci_u32_e32 v14, vcc_lo, 0, v9, vcc_lo
	s_delay_alu instid0(VALU_DEP_3) | instskip(SKIP_1) | instid1(VALU_DEP_2)
	v_cmp_ne_u32_e32 vcc_lo, 0, v10
	s_wait_alu 0xfffd
	v_cndmask_b32_e32 v8, v14, v12, vcc_lo
	v_cndmask_b32_e32 v10, v13, v11, vcc_lo
	v_cmp_ne_u32_e32 vcc_lo, 0, v7
	s_wait_alu 0xfffd
	s_delay_alu instid0(VALU_DEP_2)
	v_dual_cndmask_b32 v61, v9, v8 :: v_dual_cndmask_b32 v60, v4, v10
.LBB0_4:                                ;   in Loop: Header=BB0_2 Depth=1
	s_wait_alu 0xfffe
	s_and_not1_saveexec_b32 s2, s26
	s_cbranch_execz .LBB0_6
; %bb.5:                                ;   in Loop: Header=BB0_2 Depth=1
	v_cvt_f32_u32_e32 v4, s24
	s_sub_co_i32 s26, 0, s24
	v_mov_b32_e32 v61, v3
	s_delay_alu instid0(VALU_DEP_2) | instskip(NEXT) | instid1(TRANS32_DEP_1)
	v_rcp_iflag_f32_e32 v4, v4
	v_mul_f32_e32 v4, 0x4f7ffffe, v4
	s_delay_alu instid0(VALU_DEP_1) | instskip(SKIP_1) | instid1(VALU_DEP_1)
	v_cvt_u32_f32_e32 v4, v4
	s_wait_alu 0xfffe
	v_mul_lo_u32 v7, s26, v4
	s_delay_alu instid0(VALU_DEP_1) | instskip(NEXT) | instid1(VALU_DEP_1)
	v_mul_hi_u32 v7, v4, v7
	v_add_nc_u32_e32 v4, v4, v7
	s_delay_alu instid0(VALU_DEP_1) | instskip(NEXT) | instid1(VALU_DEP_1)
	v_mul_hi_u32 v4, v5, v4
	v_mul_lo_u32 v7, v4, s24
	v_add_nc_u32_e32 v8, 1, v4
	s_delay_alu instid0(VALU_DEP_2) | instskip(NEXT) | instid1(VALU_DEP_1)
	v_sub_nc_u32_e32 v7, v5, v7
	v_subrev_nc_u32_e32 v9, s24, v7
	v_cmp_le_u32_e32 vcc_lo, s24, v7
	s_wait_alu 0xfffd
	s_delay_alu instid0(VALU_DEP_2) | instskip(NEXT) | instid1(VALU_DEP_1)
	v_dual_cndmask_b32 v7, v7, v9 :: v_dual_cndmask_b32 v4, v4, v8
	v_cmp_le_u32_e32 vcc_lo, s24, v7
	s_delay_alu instid0(VALU_DEP_2) | instskip(SKIP_1) | instid1(VALU_DEP_1)
	v_add_nc_u32_e32 v8, 1, v4
	s_wait_alu 0xfffd
	v_cndmask_b32_e32 v60, v4, v8, vcc_lo
.LBB0_6:                                ;   in Loop: Header=BB0_2 Depth=1
	s_wait_alu 0xfffe
	s_or_b32 exec_lo, exec_lo, s2
	v_mul_lo_u32 v4, v61, s24
	s_delay_alu instid0(VALU_DEP_2)
	v_mul_lo_u32 v9, v60, s25
	s_load_b64 s[26:27], s[18:19], 0x0
	v_mad_co_u64_u32 v[7:8], null, v60, s24, 0
	s_load_b64 s[24:25], s[16:17], 0x0
	s_add_nc_u64 s[20:21], s[20:21], 1
	s_add_nc_u64 s[16:17], s[16:17], 8
	s_wait_alu 0xfffe
	v_cmp_ge_u64_e64 s2, s[20:21], s[10:11]
	s_add_nc_u64 s[18:19], s[18:19], 8
	s_add_nc_u64 s[22:23], s[22:23], 8
	v_add3_u32 v4, v8, v9, v4
	v_sub_co_u32 v5, vcc_lo, v5, v7
	s_wait_alu 0xfffd
	s_delay_alu instid0(VALU_DEP_2) | instskip(SKIP_2) | instid1(VALU_DEP_1)
	v_sub_co_ci_u32_e32 v4, vcc_lo, v6, v4, vcc_lo
	s_and_b32 vcc_lo, exec_lo, s2
	s_wait_kmcnt 0x0
	v_mul_lo_u32 v6, s26, v4
	v_mul_lo_u32 v7, s27, v5
	v_mad_co_u64_u32 v[1:2], null, s26, v5, v[1:2]
	v_mul_lo_u32 v4, s24, v4
	v_mul_lo_u32 v8, s25, v5
	v_mad_co_u64_u32 v[56:57], null, s24, v5, v[56:57]
	s_delay_alu instid0(VALU_DEP_4) | instskip(NEXT) | instid1(VALU_DEP_2)
	v_add3_u32 v2, v7, v2, v6
	v_add3_u32 v57, v8, v57, v4
	s_wait_alu 0xfffe
	s_cbranch_vccnz .LBB0_9
; %bb.7:                                ;   in Loop: Header=BB0_2 Depth=1
	v_dual_mov_b32 v5, v60 :: v_dual_mov_b32 v6, v61
	s_branch .LBB0_2
.LBB0_8:
	v_dual_mov_b32 v57, v2 :: v_dual_mov_b32 v56, v1
	v_dual_mov_b32 v61, v6 :: v_dual_mov_b32 v60, v5
.LBB0_9:
	s_load_b64 s[0:1], s[0:1], 0x28
	v_mul_hi_u32 v3, 0x124924a, v0
	s_lshl_b64 s[10:11], s[10:11], 3
                                        ; implicit-def: $vgpr58
                                        ; implicit-def: $vgpr62
	s_wait_kmcnt 0x0
	v_cmp_gt_u64_e32 vcc_lo, s[0:1], v[60:61]
	v_cmp_le_u64_e64 s0, s[0:1], v[60:61]
	s_delay_alu instid0(VALU_DEP_1)
	s_and_saveexec_b32 s1, s0
	s_wait_alu 0xfffe
	s_xor_b32 s0, exec_lo, s1
; %bb.10:
	v_mul_u32_u24_e32 v1, 0xe0, v3
                                        ; implicit-def: $vgpr3
	s_delay_alu instid0(VALU_DEP_1) | instskip(NEXT) | instid1(VALU_DEP_1)
	v_sub_nc_u32_e32 v58, v0, v1
                                        ; implicit-def: $vgpr0
                                        ; implicit-def: $vgpr1_vgpr2
	v_add_nc_u32_e32 v62, 0xe0, v58
; %bb.11:
	s_wait_alu 0xfffe
	s_or_saveexec_b32 s1, s0
	s_add_nc_u64 s[2:3], s[14:15], s[10:11]
	s_wait_alu 0xfffe
	s_xor_b32 exec_lo, exec_lo, s1
	s_cbranch_execz .LBB0_13
; %bb.12:
	s_add_nc_u64 s[10:11], s[12:13], s[10:11]
	v_lshlrev_b64_e32 v[1:2], 4, v[1:2]
	s_load_b64 s[10:11], s[10:11], 0x0
	s_wait_kmcnt 0x0
	v_mul_lo_u32 v6, s11, v60
	v_mul_lo_u32 v7, s10, v61
	v_mad_co_u64_u32 v[4:5], null, s10, v60, 0
	s_delay_alu instid0(VALU_DEP_1) | instskip(SKIP_1) | instid1(VALU_DEP_2)
	v_add3_u32 v5, v5, v7, v6
	v_mul_u32_u24_e32 v6, 0xe0, v3
	v_lshlrev_b64_e32 v[3:4], 4, v[4:5]
	s_delay_alu instid0(VALU_DEP_2) | instskip(NEXT) | instid1(VALU_DEP_1)
	v_sub_nc_u32_e32 v58, v0, v6
	v_lshlrev_b32_e32 v32, 4, v58
	s_delay_alu instid0(VALU_DEP_3) | instskip(SKIP_1) | instid1(VALU_DEP_4)
	v_add_co_u32 v0, s0, s4, v3
	s_wait_alu 0xf1ff
	v_add_co_ci_u32_e64 v3, s0, s5, v4, s0
	v_add_nc_u32_e32 v62, 0xe0, v58
	s_delay_alu instid0(VALU_DEP_3) | instskip(SKIP_1) | instid1(VALU_DEP_3)
	v_add_co_u32 v0, s0, v0, v1
	s_wait_alu 0xf1ff
	v_add_co_ci_u32_e64 v1, s0, v3, v2, s0
	s_delay_alu instid0(VALU_DEP_2) | instskip(SKIP_1) | instid1(VALU_DEP_2)
	v_add_co_u32 v28, s0, v0, v32
	s_wait_alu 0xf1ff
	v_add_co_ci_u32_e64 v29, s0, 0, v1, s0
	s_clause 0x7
	global_load_b128 v[0:3], v[28:29], off
	global_load_b128 v[4:7], v[28:29], off offset:3584
	global_load_b128 v[8:11], v[28:29], off offset:7168
	;; [unrolled: 1-line block ×7, first 2 shown]
	v_add_nc_u32_e32 v32, 0, v32
	s_wait_loadcnt 0x7
	ds_store_b128 v32, v[0:3]
	s_wait_loadcnt 0x6
	ds_store_b128 v32, v[4:7] offset:3584
	s_wait_loadcnt 0x5
	ds_store_b128 v32, v[8:11] offset:7168
	;; [unrolled: 2-line block ×7, first 2 shown]
.LBB0_13:
	s_or_b32 exec_lo, exec_lo, s1
	v_lshl_add_u32 v64, v58, 4, 0
	s_load_b64 s[2:3], s[2:3], 0x0
	global_wb scope:SCOPE_SE
	s_wait_dscnt 0x0
	s_wait_kmcnt 0x0
	s_barrier_signal -1
	s_barrier_wait -1
	global_inv scope:SCOPE_SE
	ds_load_b128 v[0:3], v64 offset:14336
	ds_load_b128 v[4:7], v64
	ds_load_b128 v[8:11], v64 offset:7168
	ds_load_b128 v[12:15], v64 offset:21504
	;; [unrolled: 1-line block ×6, first 2 shown]
	v_and_b32_e32 v55, 3, v58
	global_wb scope:SCOPE_SE
	s_wait_dscnt 0x0
	s_barrier_signal -1
	s_barrier_wait -1
	global_inv scope:SCOPE_SE
	v_and_b32_e32 v59, 63, v62
	v_cmp_gt_u32_e64 s0, 32, v58
	v_add_f64_e64 v[32:33], v[4:5], -v[0:1]
	v_add_f64_e64 v[34:35], v[6:7], -v[2:3]
	;; [unrolled: 1-line block ×8, first 2 shown]
	v_fma_f64 v[28:29], v[4:5], 2.0, -v[32:33]
	v_fma_f64 v[30:31], v[6:7], 2.0, -v[34:35]
	;; [unrolled: 1-line block ×8, first 2 shown]
	v_add_f64_e64 v[5:6], v[36:37], -v[12:13]
	v_add_f64_e64 v[0:1], v[32:33], -v[0:1]
	v_add_f64_e32 v[2:3], v[34:35], v[2:3]
	v_lshl_add_u32 v4, v62, 6, 0
	v_add_f64_e64 v[9:10], v[28:29], -v[7:8]
	v_add_f64_e64 v[11:12], v[30:31], -v[14:15]
	v_add_f64_e32 v[7:8], v[38:39], v[20:21]
	v_add_f64_e64 v[13:14], v[40:41], -v[16:17]
	v_add_f64_e64 v[15:16], v[42:43], -v[18:19]
	v_fma_f64 v[21:22], v[36:37], 2.0, -v[5:6]
	v_fma_f64 v[17:18], v[32:33], 2.0, -v[0:1]
	;; [unrolled: 1-line block ×3, first 2 shown]
	v_mul_u32_u24_e32 v33, 3, v55
	v_mad_u32_u24 v34, v58, 48, v64
	s_delay_alu instid0(VALU_DEP_2)
	v_lshlrev_b32_e32 v33, 4, v33
	v_fma_f64 v[25:26], v[28:29], 2.0, -v[9:10]
	v_fma_f64 v[27:28], v[30:31], 2.0, -v[11:12]
	;; [unrolled: 1-line block ×5, first 2 shown]
	ds_store_b128 v34, v[9:12] offset:32
	ds_store_b128 v34, v[0:3] offset:48
	ds_store_b128 v34, v[25:28]
	ds_store_b128 v34, v[17:20] offset:16
	ds_store_b128 v4, v[29:32]
	ds_store_b128 v4, v[21:24] offset:16
	ds_store_b128 v4, v[13:16] offset:32
	;; [unrolled: 1-line block ×3, first 2 shown]
	global_wb scope:SCOPE_SE
	s_wait_dscnt 0x0
	s_barrier_signal -1
	s_barrier_wait -1
	global_inv scope:SCOPE_SE
	s_clause 0x2
	global_load_b128 v[0:3], v33, s[8:9]
	global_load_b128 v[5:8], v33, s[8:9] offset:16
	global_load_b128 v[9:12], v33, s[8:9] offset:32
	ds_load_b128 v[13:16], v64 offset:7168
	ds_load_b128 v[17:20], v64 offset:14336
	;; [unrolled: 1-line block ×6, first 2 shown]
	s_wait_loadcnt_dscnt 0x205
	v_mul_f64_e32 v[37:38], v[15:16], v[2:3]
	v_mul_f64_e32 v[39:40], v[13:14], v[2:3]
	s_wait_loadcnt_dscnt 0x104
	v_mul_f64_e32 v[41:42], v[19:20], v[7:8]
	v_mul_f64_e32 v[43:44], v[17:18], v[7:8]
	;; [unrolled: 3-line block ×3, first 2 shown]
	s_wait_dscnt 0x2
	v_mul_f64_e32 v[49:50], v[27:28], v[2:3]
	v_mul_f64_e32 v[2:3], v[25:26], v[2:3]
	s_wait_dscnt 0x1
	v_mul_f64_e32 v[51:52], v[31:32], v[7:8]
	v_mul_f64_e32 v[7:8], v[29:30], v[7:8]
	;; [unrolled: 3-line block ×3, first 2 shown]
	v_fma_f64 v[13:14], v[13:14], v[0:1], -v[37:38]
	v_fma_f64 v[15:16], v[15:16], v[0:1], v[39:40]
	v_fma_f64 v[17:18], v[17:18], v[5:6], -v[41:42]
	v_fma_f64 v[19:20], v[19:20], v[5:6], v[43:44]
	;; [unrolled: 2-line block ×6, first 2 shown]
	v_mad_i32_i24 v0, 0xffffffd0, v62, v4
	ds_load_b128 v[5:8], v64
	ds_load_b128 v[9:12], v0
	v_and_b32_e32 v3, 15, v58
	global_wb scope:SCOPE_SE
	s_wait_dscnt 0x0
	s_barrier_signal -1
	s_barrier_wait -1
	global_inv scope:SCOPE_SE
	v_add_f64_e64 v[35:36], v[5:6], -v[17:18]
	v_add_f64_e64 v[37:38], v[7:8], -v[19:20]
	;; [unrolled: 1-line block ×8, first 2 shown]
	v_fma_f64 v[5:6], v[5:6], 2.0, -v[35:36]
	v_fma_f64 v[33:34], v[7:8], 2.0, -v[37:38]
	;; [unrolled: 1-line block ×4, first 2 shown]
	v_add_f64_e64 v[7:8], v[35:36], -v[19:20]
	v_fma_f64 v[39:40], v[9:10], 2.0, -v[27:28]
	v_fma_f64 v[41:42], v[11:12], 2.0, -v[29:30]
	;; [unrolled: 1-line block ×4, first 2 shown]
	v_add_f64_e32 v[9:10], v[37:38], v[17:18]
	v_add_f64_e64 v[11:12], v[27:28], -v[21:22]
	v_add_f64_e64 v[15:16], v[5:6], -v[13:14]
	;; [unrolled: 1-line block ×3, first 2 shown]
	v_add_f64_e32 v[13:14], v[29:30], v[23:24]
	v_fma_f64 v[23:24], v[35:36], 2.0, -v[7:8]
	v_add_f64_e64 v[19:20], v[39:40], -v[25:26]
	v_add_f64_e64 v[21:22], v[41:42], -v[1:2]
	v_fma_f64 v[25:26], v[37:38], 2.0, -v[9:10]
	v_fma_f64 v[27:28], v[27:28], 2.0, -v[11:12]
	;; [unrolled: 1-line block ×5, first 2 shown]
	v_lshlrev_b32_e32 v6, 2, v58
	v_lshlrev_b32_e32 v5, 2, v62
	v_fma_f64 v[35:36], v[39:40], 2.0, -v[19:20]
	v_fma_f64 v[37:38], v[41:42], 2.0, -v[21:22]
	s_delay_alu instid0(VALU_DEP_4) | instskip(SKIP_3) | instid1(VALU_DEP_4)
	v_and_or_b32 v1, 0x3f0, v6, v55
	v_mul_u32_u24_e32 v39, 3, v3
	v_and_or_b32 v2, 0x7f0, v5, v55
	v_and_b32_e32 v55, 63, v58
	v_lshl_add_u32 v1, v1, 4, 0
	s_delay_alu instid0(VALU_DEP_4) | instskip(NEXT) | instid1(VALU_DEP_4)
	v_lshlrev_b32_e32 v39, 4, v39
	v_lshl_add_u32 v2, v2, 4, 0
	ds_store_b128 v1, v[15:18] offset:128
	ds_store_b128 v1, v[7:10] offset:192
	ds_store_b128 v1, v[31:34]
	ds_store_b128 v1, v[23:26] offset:64
	ds_store_b128 v2, v[35:38]
	ds_store_b128 v2, v[27:30] offset:64
	ds_store_b128 v2, v[19:22] offset:128
	;; [unrolled: 1-line block ×3, first 2 shown]
	global_wb scope:SCOPE_SE
	s_wait_dscnt 0x0
	s_barrier_signal -1
	s_barrier_wait -1
	global_inv scope:SCOPE_SE
	s_clause 0x2
	global_load_b128 v[7:10], v39, s[8:9] offset:192
	global_load_b128 v[11:14], v39, s[8:9] offset:208
	;; [unrolled: 1-line block ×3, first 2 shown]
	ds_load_b128 v[19:22], v64 offset:7168
	ds_load_b128 v[23:26], v64 offset:14336
	;; [unrolled: 1-line block ×6, first 2 shown]
	s_wait_loadcnt_dscnt 0x205
	v_mul_f64_e32 v[1:2], v[21:22], v[9:10]
	v_mul_f64_e32 v[43:44], v[19:20], v[9:10]
	s_wait_loadcnt_dscnt 0x104
	v_mul_f64_e32 v[45:46], v[25:26], v[13:14]
	v_mul_f64_e32 v[47:48], v[23:24], v[13:14]
	;; [unrolled: 3-line block ×3, first 2 shown]
	s_wait_dscnt 0x2
	v_mul_f64_e32 v[53:54], v[33:34], v[9:10]
	v_mul_f64_e32 v[9:10], v[31:32], v[9:10]
	s_wait_dscnt 0x1
	v_mul_f64_e32 v[65:66], v[37:38], v[13:14]
	v_mul_f64_e32 v[13:14], v[35:36], v[13:14]
	;; [unrolled: 3-line block ×3, first 2 shown]
	v_fma_f64 v[1:2], v[19:20], v[7:8], -v[1:2]
	v_fma_f64 v[19:20], v[21:22], v[7:8], v[43:44]
	v_fma_f64 v[21:22], v[23:24], v[11:12], -v[45:46]
	v_fma_f64 v[23:24], v[25:26], v[11:12], v[47:48]
	;; [unrolled: 2-line block ×6, first 2 shown]
	ds_load_b128 v[7:10], v64
	ds_load_b128 v[11:14], v0
	global_wb scope:SCOPE_SE
	s_wait_dscnt 0x0
	s_barrier_signal -1
	s_barrier_wait -1
	global_inv scope:SCOPE_SE
	v_add_f64_e64 v[39:40], v[7:8], -v[21:22]
	v_add_f64_e64 v[41:42], v[9:10], -v[23:24]
	v_add_f64_e64 v[17:18], v[1:2], -v[25:26]
	v_add_f64_e64 v[21:22], v[19:20], -v[27:28]
	v_add_f64_e64 v[27:28], v[11:12], -v[33:34]
	v_add_f64_e64 v[43:44], v[13:14], -v[35:36]
	v_add_f64_e64 v[23:24], v[29:30], -v[37:38]
	v_add_f64_e64 v[15:16], v[31:32], -v[15:16]
	v_fma_f64 v[33:34], v[7:8], 2.0, -v[39:40]
	v_fma_f64 v[35:36], v[9:10], 2.0, -v[41:42]
	;; [unrolled: 1-line block ×4, first 2 shown]
	v_add_f64_e32 v[9:10], v[41:42], v[17:18]
	v_add_f64_e64 v[7:8], v[39:40], -v[21:22]
	v_fma_f64 v[37:38], v[11:12], 2.0, -v[27:28]
	v_fma_f64 v[45:46], v[13:14], 2.0, -v[43:44]
	;; [unrolled: 1-line block ×4, first 2 shown]
	v_add_f64_e64 v[11:12], v[27:28], -v[15:16]
	v_add_f64_e64 v[15:16], v[33:34], -v[1:2]
	;; [unrolled: 1-line block ×3, first 2 shown]
	v_and_or_b32 v1, 0x3c0, v6, v3
	v_and_or_b32 v2, 0x7c0, v5, v3
	v_mul_u32_u24_e32 v3, 3, v55
	v_and_or_b32 v6, 0x300, v6, v55
	v_add_f64_e64 v[19:20], v[37:38], -v[13:14]
	v_add_f64_e64 v[21:22], v[45:46], -v[25:26]
	v_add_f64_e32 v[13:14], v[43:44], v[23:24]
	v_fma_f64 v[23:24], v[39:40], 2.0, -v[7:8]
	v_fma_f64 v[25:26], v[41:42], 2.0, -v[9:10]
	;; [unrolled: 1-line block ×3, first 2 shown]
	v_mul_u32_u24_e32 v39, 3, v59
	v_lshl_add_u32 v1, v1, 4, 0
	v_lshlrev_b32_e32 v3, 4, v3
	v_lshl_add_u32 v2, v2, 4, 0
	v_and_or_b32 v5, 0x700, v5, v59
	v_lshl_add_u32 v6, v6, 4, 0
	s_delay_alu instid0(VALU_DEP_2)
	v_lshl_add_u32 v5, v5, 4, 0
	v_fma_f64 v[31:32], v[33:34], 2.0, -v[15:16]
	v_fma_f64 v[33:34], v[35:36], 2.0, -v[17:18]
	;; [unrolled: 1-line block ×5, first 2 shown]
	ds_store_b128 v1, v[15:18] offset:512
	ds_store_b128 v1, v[7:10] offset:768
	ds_store_b128 v1, v[31:34]
	ds_store_b128 v1, v[23:26] offset:256
	ds_store_b128 v2, v[35:38]
	ds_store_b128 v2, v[27:30] offset:256
	ds_store_b128 v2, v[19:22] offset:512
	;; [unrolled: 1-line block ×3, first 2 shown]
	v_lshlrev_b32_e32 v1, 4, v39
	global_wb scope:SCOPE_SE
	s_wait_dscnt 0x0
	s_barrier_signal -1
	s_barrier_wait -1
	global_inv scope:SCOPE_SE
	s_clause 0x5
	global_load_b128 v[7:10], v3, s[8:9] offset:960
	global_load_b128 v[11:14], v3, s[8:9] offset:976
	;; [unrolled: 1-line block ×6, first 2 shown]
	ds_load_b128 v[31:34], v64 offset:7168
	ds_load_b128 v[35:38], v64 offset:14336
	;; [unrolled: 1-line block ×6, first 2 shown]
	s_wait_loadcnt_dscnt 0x404
	v_mul_f64_e32 v[65:66], v[37:38], v[13:14]
	v_mul_f64_e32 v[13:14], v[35:36], v[13:14]
	s_wait_loadcnt_dscnt 0x303
	v_mul_f64_e32 v[67:68], v[41:42], v[17:18]
	v_mul_f64_e32 v[1:2], v[33:34], v[9:10]
	;; [unrolled: 1-line block ×4, first 2 shown]
	s_wait_loadcnt_dscnt 0x202
	v_mul_f64_e32 v[69:70], v[45:46], v[21:22]
	v_mul_f64_e32 v[21:22], v[43:44], v[21:22]
	s_wait_loadcnt_dscnt 0x101
	v_mul_f64_e32 v[71:72], v[49:50], v[25:26]
	v_mul_f64_e32 v[25:26], v[47:48], v[25:26]
	;; [unrolled: 3-line block ×3, first 2 shown]
	v_fma_f64 v[35:36], v[35:36], v[11:12], -v[65:66]
	v_fma_f64 v[11:12], v[37:38], v[11:12], v[13:14]
	v_fma_f64 v[13:14], v[39:40], v[15:16], -v[67:68]
	v_fma_f64 v[31:32], v[31:32], v[7:8], -v[1:2]
	v_fma_f64 v[33:34], v[33:34], v[7:8], v[9:10]
	v_fma_f64 v[15:16], v[41:42], v[15:16], v[17:18]
	v_fma_f64 v[17:18], v[43:44], v[19:20], -v[69:70]
	v_fma_f64 v[19:20], v[45:46], v[19:20], v[21:22]
	v_fma_f64 v[21:22], v[47:48], v[23:24], -v[71:72]
	;; [unrolled: 2-line block ×3, first 2 shown]
	v_fma_f64 v[27:28], v[53:54], v[27:28], v[29:30]
	ds_load_b128 v[7:10], v64
	ds_load_b128 v[0:3], v0
	global_wb scope:SCOPE_SE
	s_wait_dscnt 0x0
	s_barrier_signal -1
	s_barrier_wait -1
	global_inv scope:SCOPE_SE
	v_add_f64_e64 v[29:30], v[7:8], -v[35:36]
	v_add_f64_e64 v[35:36], v[9:10], -v[11:12]
	;; [unrolled: 1-line block ×8, first 2 shown]
	v_fma_f64 v[25:26], v[7:8], 2.0, -v[29:30]
	v_fma_f64 v[41:42], v[9:10], 2.0, -v[35:36]
	;; [unrolled: 1-line block ×3, first 2 shown]
	v_add_f64_e32 v[9:10], v[35:36], v[11:12]
	v_fma_f64 v[27:28], v[33:34], 2.0, -v[13:14]
	v_add_f64_e64 v[7:8], v[29:30], -v[13:14]
	v_fma_f64 v[31:32], v[0:1], 2.0, -v[37:38]
	v_fma_f64 v[33:34], v[2:3], 2.0, -v[39:40]
	;; [unrolled: 1-line block ×4, first 2 shown]
	v_add_f64_e64 v[0:1], v[37:38], -v[15:16]
	v_add_f64_e64 v[11:12], v[25:26], -v[23:24]
	;; [unrolled: 1-line block ×3, first 2 shown]
	v_fma_f64 v[19:20], v[29:30], 2.0, -v[7:8]
	v_add_f64_e64 v[15:16], v[31:32], -v[2:3]
	v_add_f64_e64 v[17:18], v[33:34], -v[17:18]
	v_add_f64_e32 v[2:3], v[39:40], v[21:22]
	v_fma_f64 v[21:22], v[35:36], 2.0, -v[9:10]
	v_fma_f64 v[23:24], v[37:38], 2.0, -v[0:1]
	;; [unrolled: 1-line block ×7, first 2 shown]
	ds_store_b128 v6, v[11:14] offset:2048
	ds_store_b128 v6, v[7:10] offset:3072
	ds_store_b128 v6, v[27:30]
	ds_store_b128 v6, v[19:22] offset:1024
	ds_store_b128 v5, v[31:34]
	ds_store_b128 v5, v[23:26] offset:1024
	ds_store_b128 v5, v[15:18] offset:2048
	;; [unrolled: 1-line block ×3, first 2 shown]
	global_wb scope:SCOPE_SE
	s_wait_dscnt 0x0
	s_barrier_signal -1
	s_barrier_wait -1
	global_inv scope:SCOPE_SE
	ds_load_b128 v[28:31], v64
	ds_load_b128 v[48:51], v64 offset:4096
	ds_load_b128 v[44:47], v64 offset:8192
	;; [unrolled: 1-line block ×6, first 2 shown]
	v_mul_i32_i24_e32 v5, 0xffffffd0, v62
                                        ; implicit-def: $vgpr26_vgpr27
                                        ; implicit-def: $vgpr22_vgpr23
                                        ; implicit-def: $vgpr18_vgpr19
                                        ; implicit-def: $vgpr14_vgpr15
                                        ; implicit-def: $vgpr10_vgpr11
                                        ; implicit-def: $vgpr6_vgpr7
	s_delay_alu instid0(VALU_DEP_1)
	v_add_nc_u32_e32 v65, v4, v5
	s_and_saveexec_b32 s1, s0
	s_cbranch_execz .LBB0_15
; %bb.14:
	ds_load_b128 v[0:3], v65
	ds_load_b128 v[4:7], v64 offset:7680
	ds_load_b128 v[8:11], v64 offset:11776
	;; [unrolled: 1-line block ×6, first 2 shown]
.LBB0_15:
	s_wait_alu 0xfffe
	s_or_b32 exec_lo, exec_lo, s1
	v_mul_u32_u24_e32 v59, 6, v58
	s_mov_b32 s10, 0x37e14327
	s_mov_b32 s12, 0xe976ee23
	;; [unrolled: 1-line block ×4, first 2 shown]
	v_lshlrev_b32_e32 v59, 4, v59
	s_mov_b32 s4, 0x429ad128
	s_mov_b32 s5, 0x3febfeb5
	;; [unrolled: 1-line block ×4, first 2 shown]
	s_clause 0x5
	global_load_b128 v[66:69], v59, s[8:9] offset:4032
	global_load_b128 v[70:73], v59, s[8:9] offset:4048
	;; [unrolled: 1-line block ×6, first 2 shown]
	s_mov_b32 s14, 0xaaaaaaaa
	s_mov_b32 s22, 0xb247c609
	;; [unrolled: 1-line block ×12, first 2 shown]
	global_wb scope:SCOPE_SE
	s_wait_loadcnt_dscnt 0x0
	s_barrier_signal -1
	s_barrier_wait -1
	global_inv scope:SCOPE_SE
	v_mul_f64_e32 v[90:91], v[50:51], v[68:69]
	v_mul_f64_e32 v[68:69], v[48:49], v[68:69]
	v_mul_f64_e32 v[92:93], v[46:47], v[72:73]
	v_mul_f64_e32 v[72:73], v[44:45], v[72:73]
	v_mul_f64_e32 v[94:95], v[54:55], v[76:77]
	v_mul_f64_e32 v[76:77], v[52:53], v[76:77]
	v_mul_f64_e32 v[96:97], v[42:43], v[80:81]
	v_mul_f64_e32 v[80:81], v[40:41], v[80:81]
	v_mul_f64_e32 v[98:99], v[38:39], v[84:85]
	v_mul_f64_e32 v[84:85], v[36:37], v[84:85]
	v_mul_f64_e32 v[100:101], v[34:35], v[88:89]
	v_mul_f64_e32 v[88:89], v[32:33], v[88:89]
	v_fma_f64 v[48:49], v[48:49], v[66:67], -v[90:91]
	v_fma_f64 v[50:51], v[50:51], v[66:67], v[68:69]
	v_fma_f64 v[44:45], v[44:45], v[70:71], -v[92:93]
	v_fma_f64 v[46:47], v[46:47], v[70:71], v[72:73]
	;; [unrolled: 2-line block ×6, first 2 shown]
	v_add_f64_e32 v[66:67], v[48:49], v[52:53]
	v_add_f64_e32 v[68:69], v[50:51], v[54:55]
	;; [unrolled: 1-line block ×4, first 2 shown]
	v_add_f64_e64 v[40:41], v[44:45], -v[40:41]
	v_add_f64_e64 v[42:43], v[46:47], -v[42:43]
	v_add_f64_e32 v[44:45], v[36:37], v[32:33]
	v_add_f64_e32 v[46:47], v[38:39], v[34:35]
	v_add_f64_e64 v[32:33], v[32:33], -v[36:37]
	v_add_f64_e64 v[34:35], v[34:35], -v[38:39]
	;; [unrolled: 1-line block ×4, first 2 shown]
	v_add_f64_e32 v[48:49], v[70:71], v[66:67]
	v_add_f64_e32 v[50:51], v[72:73], v[68:69]
	v_add_f64_e64 v[52:53], v[66:67], -v[44:45]
	v_add_f64_e64 v[54:55], v[68:69], -v[46:47]
	;; [unrolled: 1-line block ×6, first 2 shown]
	v_add_f64_e32 v[40:41], v[32:33], v[40:41]
	v_add_f64_e32 v[42:43], v[34:35], v[42:43]
	v_add_f64_e64 v[32:33], v[36:37], -v[32:33]
	v_add_f64_e64 v[34:35], v[38:39], -v[34:35]
	;; [unrolled: 1-line block ×4, first 2 shown]
	v_add_f64_e32 v[48:49], v[44:45], v[48:49]
	v_add_f64_e32 v[50:51], v[46:47], v[50:51]
	v_add_f64_e64 v[44:45], v[44:45], -v[70:71]
	v_add_f64_e64 v[46:47], v[46:47], -v[72:73]
	s_wait_alu 0xfffe
	v_mul_f64_e32 v[52:53], s[10:11], v[52:53]
	v_mul_f64_e32 v[54:55], s[10:11], v[54:55]
	;; [unrolled: 1-line block ×6, first 2 shown]
	v_add_f64_e32 v[36:37], v[40:41], v[36:37]
	v_add_f64_e32 v[38:39], v[42:43], v[38:39]
	;; [unrolled: 1-line block ×4, first 2 shown]
	v_mul_f64_e32 v[70:71], s[18:19], v[44:45]
	v_mul_f64_e32 v[72:73], s[18:19], v[46:47]
	v_fma_f64 v[40:41], v[44:45], s[18:19], v[52:53]
	v_fma_f64 v[42:43], v[46:47], s[18:19], v[54:55]
	;; [unrolled: 1-line block ×4, first 2 shown]
	v_fma_f64 v[74:75], v[78:79], s[4:5], -v[74:75]
	v_fma_f64 v[76:77], v[80:81], s[4:5], -v[76:77]
	;; [unrolled: 1-line block ×6, first 2 shown]
	v_fma_f64 v[48:49], v[48:49], s[14:15], v[28:29]
	v_fma_f64 v[50:51], v[50:51], s[14:15], v[30:31]
	v_fma_f64 v[66:67], v[66:67], s[16:17], -v[70:71]
	v_fma_f64 v[68:69], v[68:69], s[16:17], -v[72:73]
	v_fma_f64 v[70:71], v[36:37], s[26:27], v[44:45]
	v_fma_f64 v[72:73], v[38:39], s[26:27], v[46:47]
	;; [unrolled: 1-line block ×6, first 2 shown]
	v_add_f64_e32 v[78:79], v[40:41], v[48:49]
	v_add_f64_e32 v[80:81], v[42:43], v[50:51]
	;; [unrolled: 1-line block ×7, first 2 shown]
	v_add_f64_e64 v[34:35], v[80:81], -v[70:71]
	v_add_f64_e32 v[36:37], v[76:77], v[52:53]
	v_add_f64_e64 v[38:39], v[54:55], -v[74:75]
	v_add_f64_e64 v[40:41], v[48:49], -v[44:45]
	v_add_f64_e32 v[42:43], v[46:47], v[50:51]
	v_add_f64_e32 v[44:45], v[44:45], v[48:49]
	v_add_f64_e64 v[46:47], v[50:51], -v[46:47]
	v_add_f64_e64 v[48:49], v[52:53], -v[76:77]
	v_add_f64_e32 v[50:51], v[74:75], v[54:55]
	v_add_f64_e64 v[52:53], v[78:79], -v[72:73]
	v_add_f64_e32 v[54:55], v[70:71], v[80:81]
	ds_store_b128 v64, v[28:31]
	ds_store_b128 v64, v[32:35] offset:4096
	ds_store_b128 v64, v[36:39] offset:8192
	;; [unrolled: 1-line block ×6, first 2 shown]
	s_and_saveexec_b32 s1, s0
	s_cbranch_execz .LBB0_17
; %bb.16:
	v_and_b32_e32 v28, 0xff, v62
	s_delay_alu instid0(VALU_DEP_1) | instskip(NEXT) | instid1(VALU_DEP_1)
	v_mul_u32_u24_e32 v28, 6, v28
	v_lshlrev_b32_e32 v48, 4, v28
	s_clause 0x5
	global_load_b128 v[28:31], v48, s[8:9] offset:4048
	global_load_b128 v[32:35], v48, s[8:9] offset:4096
	global_load_b128 v[36:39], v48, s[8:9] offset:4032
	global_load_b128 v[40:43], v48, s[8:9] offset:4112
	global_load_b128 v[44:47], v48, s[8:9] offset:4080
	global_load_b128 v[48:51], v48, s[8:9] offset:4064
	s_wait_loadcnt 0x5
	v_mul_f64_e32 v[52:53], v[8:9], v[30:31]
	s_wait_loadcnt 0x4
	v_mul_f64_e32 v[54:55], v[20:21], v[34:35]
	;; [unrolled: 2-line block ×4, first 2 shown]
	v_mul_f64_e32 v[30:31], v[10:11], v[30:31]
	v_mul_f64_e32 v[34:35], v[22:23], v[34:35]
	;; [unrolled: 1-line block ×4, first 2 shown]
	s_wait_loadcnt 0x1
	v_mul_f64_e32 v[70:71], v[18:19], v[46:47]
	s_wait_loadcnt 0x0
	v_mul_f64_e32 v[72:73], v[14:15], v[50:51]
	v_mul_f64_e32 v[50:51], v[12:13], v[50:51]
	;; [unrolled: 1-line block ×3, first 2 shown]
	v_fma_f64 v[10:11], v[10:11], v[28:29], v[52:53]
	v_fma_f64 v[22:23], v[22:23], v[32:33], v[54:55]
	v_fma_f64 v[6:7], v[6:7], v[36:37], v[66:67]
	v_fma_f64 v[26:27], v[26:27], v[40:41], v[68:69]
	v_fma_f64 v[8:9], v[8:9], v[28:29], -v[30:31]
	v_fma_f64 v[20:21], v[20:21], v[32:33], -v[34:35]
	;; [unrolled: 1-line block ×6, first 2 shown]
	v_fma_f64 v[14:15], v[14:15], v[48:49], v[50:51]
	v_fma_f64 v[18:19], v[18:19], v[44:45], v[46:47]
	v_add_f64_e32 v[28:29], v[10:11], v[22:23]
	v_add_f64_e64 v[10:11], v[10:11], -v[22:23]
	v_add_f64_e32 v[30:31], v[6:7], v[26:27]
	v_add_f64_e64 v[6:7], v[6:7], -v[26:27]
	v_add_f64_e32 v[32:33], v[8:9], v[20:21]
	v_add_f64_e64 v[8:9], v[8:9], -v[20:21]
	v_add_f64_e32 v[34:35], v[4:5], v[24:25]
	v_add_f64_e64 v[4:5], v[4:5], -v[24:25]
	v_add_f64_e64 v[36:37], v[16:17], -v[12:13]
	v_add_f64_e32 v[12:13], v[12:13], v[16:17]
	v_add_f64_e32 v[20:21], v[14:15], v[18:19]
	v_add_f64_e64 v[14:15], v[18:19], -v[14:15]
	v_add_f64_e32 v[16:17], v[28:29], v[30:31]
	v_add_f64_e64 v[42:43], v[10:11], -v[6:7]
	;; [unrolled: 2-line block ×3, first 2 shown]
	v_add_f64_e64 v[22:23], v[36:37], -v[8:9]
	v_add_f64_e64 v[26:27], v[34:35], -v[12:13]
	;; [unrolled: 1-line block ×4, first 2 shown]
	v_add_f64_e32 v[8:9], v[36:37], v[8:9]
	v_add_f64_e64 v[36:37], v[4:5], -v[36:37]
	v_add_f64_e32 v[10:11], v[14:15], v[10:11]
	v_add_f64_e64 v[14:15], v[6:7], -v[14:15]
	;; [unrolled: 2-line block ×3, first 2 shown]
	v_add_f64_e64 v[28:29], v[28:29], -v[30:31]
	v_mul_f64_e32 v[46:47], s[4:5], v[42:43]
	v_add_f64_e32 v[18:19], v[12:13], v[18:19]
	v_add_f64_e64 v[12:13], v[12:13], -v[32:33]
	v_mul_f64_e32 v[22:23], s[12:13], v[22:23]
	v_mul_f64_e32 v[26:27], s[10:11], v[26:27]
	;; [unrolled: 1-line block ×5, first 2 shown]
	v_add_f64_e64 v[32:33], v[32:33], -v[34:35]
	v_add_f64_e32 v[4:5], v[8:9], v[4:5]
	v_add_f64_e32 v[6:7], v[10:11], v[6:7]
	;; [unrolled: 1-line block ×3, first 2 shown]
	v_mul_f64_e32 v[30:31], s[18:19], v[20:21]
	v_add_f64_e32 v[0:1], v[0:1], v[18:19]
	v_mul_f64_e32 v[34:35], s[18:19], v[12:13]
	v_fma_f64 v[8:9], v[36:37], s[22:23], v[22:23]
	v_fma_f64 v[12:13], v[12:13], s[18:19], v[26:27]
	;; [unrolled: 1-line block ×3, first 2 shown]
	v_fma_f64 v[20:21], v[36:37], s[24:25], -v[44:45]
	v_fma_f64 v[22:23], v[38:39], s[4:5], -v[22:23]
	;; [unrolled: 1-line block ×5, first 2 shown]
	v_fma_f64 v[16:17], v[16:17], s[14:15], v[2:3]
	v_fma_f64 v[28:29], v[28:29], s[16:17], -v[30:31]
	v_fma_f64 v[30:31], v[14:15], s[22:23], v[40:41]
	v_fma_f64 v[14:15], v[14:15], s[24:25], -v[46:47]
	v_fma_f64 v[18:19], v[18:19], s[14:15], v[0:1]
	v_fma_f64 v[32:33], v[32:33], s[16:17], -v[34:35]
	v_fma_f64 v[8:9], v[4:5], s[26:27], v[8:9]
	v_fma_f64 v[20:21], v[4:5], s[26:27], v[20:21]
	;; [unrolled: 1-line block ×4, first 2 shown]
	v_add_f64_e32 v[34:35], v[10:11], v[16:17]
	v_add_f64_e32 v[22:23], v[24:25], v[16:17]
	;; [unrolled: 1-line block ×3, first 2 shown]
	v_fma_f64 v[28:29], v[6:7], s[26:27], v[30:31]
	v_add_f64_e32 v[38:39], v[12:13], v[18:19]
	v_fma_f64 v[30:31], v[6:7], s[26:27], v[14:15]
	v_add_f64_e32 v[40:41], v[26:27], v[18:19]
	v_add_f64_e32 v[12:13], v[32:33], v[18:19]
	v_add_f64_e64 v[26:27], v[34:35], -v[8:9]
	v_add_f64_e32 v[10:11], v[20:21], v[22:23]
	v_add_f64_e64 v[22:23], v[22:23], -v[20:21]
	v_add_f64_e64 v[14:15], v[16:17], -v[4:5]
	v_add_f64_e32 v[24:25], v[28:29], v[38:39]
	v_add_f64_e32 v[18:19], v[4:5], v[16:17]
	;; [unrolled: 1-line block ×3, first 2 shown]
	v_add_f64_e64 v[16:17], v[12:13], -v[36:37]
	v_add_f64_e32 v[12:13], v[36:37], v[12:13]
	v_add_f64_e32 v[6:7], v[8:9], v[34:35]
	v_add_f64_e64 v[8:9], v[40:41], -v[30:31]
	v_add_f64_e64 v[4:5], v[38:39], -v[28:29]
	ds_store_b128 v64, v[0:3] offset:3584
	ds_store_b128 v64, v[24:27] offset:7680
	;; [unrolled: 1-line block ×7, first 2 shown]
.LBB0_17:
	s_wait_alu 0xfffe
	s_or_b32 exec_lo, exec_lo, s1
	global_wb scope:SCOPE_SE
	s_wait_dscnt 0x0
	s_barrier_signal -1
	s_barrier_wait -1
	global_inv scope:SCOPE_SE
	ds_load_b128 v[4:7], v64
	v_lshlrev_b32_e32 v0, 4, v58
	s_mov_b32 s1, exec_lo
                                        ; implicit-def: $vgpr8_vgpr9
                                        ; implicit-def: $vgpr10_vgpr11
                                        ; implicit-def: $vgpr12_vgpr13
	s_delay_alu instid0(VALU_DEP_1)
	v_sub_nc_u32_e32 v14, 0, v0
                                        ; implicit-def: $vgpr0_vgpr1
	v_cmpx_ne_u32_e32 0, v58
	s_wait_alu 0xfffe
	s_xor_b32 s1, exec_lo, s1
	s_cbranch_execz .LBB0_19
; %bb.18:
	v_mov_b32_e32 v59, 0
	s_delay_alu instid0(VALU_DEP_1) | instskip(NEXT) | instid1(VALU_DEP_1)
	v_lshlrev_b64_e32 v[0:1], 4, v[58:59]
	v_add_co_u32 v0, s0, s8, v0
	s_wait_alu 0xf1ff
	s_delay_alu instid0(VALU_DEP_2)
	v_add_co_ci_u32_e64 v1, s0, s9, v1, s0
	global_load_b128 v[15:18], v[0:1], off offset:28608
	ds_load_b128 v[0:3], v14 offset:28672
	s_wait_dscnt 0x0
	v_add_f64_e64 v[8:9], v[4:5], -v[0:1]
	v_add_f64_e32 v[10:11], v[6:7], v[2:3]
	v_add_f64_e64 v[2:3], v[6:7], -v[2:3]
	v_add_f64_e32 v[0:1], v[4:5], v[0:1]
	s_delay_alu instid0(VALU_DEP_4) | instskip(NEXT) | instid1(VALU_DEP_4)
	v_mul_f64_e32 v[6:7], 0.5, v[8:9]
	v_mul_f64_e32 v[4:5], 0.5, v[10:11]
	s_delay_alu instid0(VALU_DEP_4) | instskip(SKIP_1) | instid1(VALU_DEP_3)
	v_mul_f64_e32 v[2:3], 0.5, v[2:3]
	s_wait_loadcnt 0x0
	v_mul_f64_e32 v[8:9], v[6:7], v[17:18]
	s_delay_alu instid0(VALU_DEP_2) | instskip(SKIP_1) | instid1(VALU_DEP_3)
	v_fma_f64 v[10:11], v[4:5], v[17:18], v[2:3]
	v_fma_f64 v[2:3], v[4:5], v[17:18], -v[2:3]
	v_fma_f64 v[12:13], v[0:1], 0.5, v[8:9]
	v_fma_f64 v[0:1], v[0:1], 0.5, -v[8:9]
	s_delay_alu instid0(VALU_DEP_4) | instskip(NEXT) | instid1(VALU_DEP_4)
	v_fma_f64 v[10:11], -v[15:16], v[6:7], v[10:11]
	v_fma_f64 v[2:3], -v[15:16], v[6:7], v[2:3]
	s_delay_alu instid0(VALU_DEP_4) | instskip(NEXT) | instid1(VALU_DEP_4)
	v_fma_f64 v[8:9], v[4:5], v[15:16], v[12:13]
	v_fma_f64 v[0:1], -v[4:5], v[15:16], v[0:1]
	v_dual_mov_b32 v12, v58 :: v_dual_mov_b32 v13, v59
                                        ; implicit-def: $vgpr4_vgpr5
.LBB0_19:
	s_wait_alu 0xfffe
	s_and_not1_saveexec_b32 s0, s1
	s_cbranch_execz .LBB0_21
; %bb.20:
	s_wait_dscnt 0x0
	v_add_f64_e32 v[8:9], v[4:5], v[6:7]
	v_add_f64_e64 v[0:1], v[4:5], -v[6:7]
	v_mov_b32_e32 v6, 0
	v_mov_b32_e32 v10, 0
	v_dual_mov_b32 v11, 0 :: v_dual_mov_b32 v12, 0
	s_delay_alu instid0(VALU_DEP_2)
	v_mov_b32_e32 v2, v10
	ds_load_b64 v[4:5], v6 offset:14344
	v_mov_b32_e32 v13, 0
	v_mov_b32_e32 v3, v11
	s_wait_dscnt 0x0
	v_xor_b32_e32 v5, 0x80000000, v5
	ds_store_b64 v6, v[4:5] offset:14344
.LBB0_21:
	s_wait_alu 0xfffe
	s_or_b32 exec_lo, exec_lo, s0
	v_mov_b32_e32 v63, 0
	v_lshlrev_b64_e32 v[12:13], 4, v[12:13]
	s_wait_dscnt 0x0
	s_delay_alu instid0(VALU_DEP_2) | instskip(NEXT) | instid1(VALU_DEP_1)
	v_lshlrev_b64_e32 v[4:5], 4, v[62:63]
	v_add_co_u32 v4, s0, s8, v4
	s_wait_alu 0xf1ff
	s_delay_alu instid0(VALU_DEP_2)
	v_add_co_ci_u32_e64 v5, s0, s9, v5, s0
	s_add_nc_u64 s[0:1], s[8:9], 0x6fc0
	s_wait_alu 0xfffe
	v_add_co_u32 v12, s0, s0, v12
	global_load_b128 v[4:7], v[4:5], off offset:28608
	s_wait_alu 0xf1ff
	v_add_co_ci_u32_e64 v13, s0, s1, v13, s0
	global_load_b128 v[15:18], v[12:13], off offset:7168
	ds_store_2addr_b64 v64, v[8:9], v[10:11] offset1:1
	ds_store_b128 v14, v[0:3] offset:28672
	ds_load_b128 v[0:3], v65
	ds_load_b128 v[8:11], v14 offset:25088
	s_wait_dscnt 0x0
	v_add_f64_e64 v[19:20], v[0:1], -v[8:9]
	v_add_f64_e32 v[21:22], v[2:3], v[10:11]
	v_add_f64_e64 v[2:3], v[2:3], -v[10:11]
	v_add_f64_e32 v[0:1], v[0:1], v[8:9]
	s_delay_alu instid0(VALU_DEP_4) | instskip(NEXT) | instid1(VALU_DEP_4)
	v_mul_f64_e32 v[10:11], 0.5, v[19:20]
	v_mul_f64_e32 v[19:20], 0.5, v[21:22]
	s_delay_alu instid0(VALU_DEP_4) | instskip(SKIP_1) | instid1(VALU_DEP_3)
	v_mul_f64_e32 v[2:3], 0.5, v[2:3]
	s_wait_loadcnt 0x1
	v_mul_f64_e32 v[8:9], v[10:11], v[6:7]
	s_delay_alu instid0(VALU_DEP_2) | instskip(SKIP_1) | instid1(VALU_DEP_3)
	v_fma_f64 v[21:22], v[19:20], v[6:7], v[2:3]
	v_fma_f64 v[2:3], v[19:20], v[6:7], -v[2:3]
	v_fma_f64 v[6:7], v[0:1], 0.5, v[8:9]
	v_fma_f64 v[0:1], v[0:1], 0.5, -v[8:9]
	s_delay_alu instid0(VALU_DEP_4) | instskip(NEXT) | instid1(VALU_DEP_4)
	v_fma_f64 v[8:9], -v[4:5], v[10:11], v[21:22]
	v_fma_f64 v[10:11], -v[4:5], v[10:11], v[2:3]
	s_delay_alu instid0(VALU_DEP_4) | instskip(NEXT) | instid1(VALU_DEP_4)
	v_fma_f64 v[6:7], v[19:20], v[4:5], v[6:7]
	v_fma_f64 v[4:5], -v[19:20], v[4:5], v[0:1]
	global_load_b128 v[0:3], v[12:13], off offset:10752
	ds_store_b64 v65, v[8:9] offset:8
	ds_store_b64 v14, v[10:11] offset:25096
	ds_store_b64 v65, v[6:7]
	ds_store_b64 v14, v[4:5] offset:25088
	ds_load_b128 v[4:7], v64 offset:7168
	ds_load_b128 v[8:11], v14 offset:21504
	s_wait_dscnt 0x0
	v_add_f64_e64 v[12:13], v[4:5], -v[8:9]
	v_add_f64_e32 v[19:20], v[6:7], v[10:11]
	v_add_f64_e64 v[6:7], v[6:7], -v[10:11]
	v_add_f64_e32 v[4:5], v[4:5], v[8:9]
	s_delay_alu instid0(VALU_DEP_4) | instskip(NEXT) | instid1(VALU_DEP_4)
	v_mul_f64_e32 v[10:11], 0.5, v[12:13]
	v_mul_f64_e32 v[12:13], 0.5, v[19:20]
	s_delay_alu instid0(VALU_DEP_4) | instskip(SKIP_1) | instid1(VALU_DEP_3)
	v_mul_f64_e32 v[6:7], 0.5, v[6:7]
	s_wait_loadcnt 0x1
	v_mul_f64_e32 v[8:9], v[10:11], v[17:18]
	s_delay_alu instid0(VALU_DEP_2) | instskip(SKIP_1) | instid1(VALU_DEP_3)
	v_fma_f64 v[19:20], v[12:13], v[17:18], v[6:7]
	v_fma_f64 v[6:7], v[12:13], v[17:18], -v[6:7]
	v_fma_f64 v[17:18], v[4:5], 0.5, v[8:9]
	v_fma_f64 v[4:5], v[4:5], 0.5, -v[8:9]
	s_delay_alu instid0(VALU_DEP_4) | instskip(NEXT) | instid1(VALU_DEP_4)
	v_fma_f64 v[8:9], -v[15:16], v[10:11], v[19:20]
	v_fma_f64 v[6:7], -v[15:16], v[10:11], v[6:7]
	s_delay_alu instid0(VALU_DEP_4) | instskip(NEXT) | instid1(VALU_DEP_4)
	v_fma_f64 v[10:11], v[12:13], v[15:16], v[17:18]
	v_fma_f64 v[4:5], -v[12:13], v[15:16], v[4:5]
	v_add_nc_u32_e32 v12, 0x1800, v64
	ds_store_2addr_b64 v12, v[10:11], v[8:9] offset0:128 offset1:129
	ds_store_b128 v14, v[4:7] offset:21504
	ds_load_b128 v[4:7], v64 offset:10752
	ds_load_b128 v[8:11], v14 offset:17920
	s_wait_dscnt 0x0
	v_add_f64_e64 v[12:13], v[4:5], -v[8:9]
	v_add_f64_e32 v[15:16], v[6:7], v[10:11]
	v_add_f64_e64 v[6:7], v[6:7], -v[10:11]
	v_add_f64_e32 v[4:5], v[4:5], v[8:9]
	s_delay_alu instid0(VALU_DEP_4) | instskip(NEXT) | instid1(VALU_DEP_4)
	v_mul_f64_e32 v[10:11], 0.5, v[12:13]
	v_mul_f64_e32 v[12:13], 0.5, v[15:16]
	s_delay_alu instid0(VALU_DEP_4) | instskip(SKIP_1) | instid1(VALU_DEP_3)
	v_mul_f64_e32 v[6:7], 0.5, v[6:7]
	s_wait_loadcnt 0x0
	v_mul_f64_e32 v[8:9], v[10:11], v[2:3]
	s_delay_alu instid0(VALU_DEP_2) | instskip(SKIP_1) | instid1(VALU_DEP_3)
	v_fma_f64 v[15:16], v[12:13], v[2:3], v[6:7]
	v_fma_f64 v[2:3], v[12:13], v[2:3], -v[6:7]
	v_fma_f64 v[6:7], v[4:5], 0.5, v[8:9]
	v_fma_f64 v[4:5], v[4:5], 0.5, -v[8:9]
	s_delay_alu instid0(VALU_DEP_4) | instskip(NEXT) | instid1(VALU_DEP_4)
	v_fma_f64 v[8:9], -v[0:1], v[10:11], v[15:16]
	v_fma_f64 v[2:3], -v[0:1], v[10:11], v[2:3]
	s_delay_alu instid0(VALU_DEP_4) | instskip(NEXT) | instid1(VALU_DEP_4)
	v_fma_f64 v[6:7], v[12:13], v[0:1], v[6:7]
	v_fma_f64 v[0:1], -v[12:13], v[0:1], v[4:5]
	v_add_nc_u32_e32 v4, 0x2800, v64
	ds_store_2addr_b64 v4, v[6:7], v[8:9] offset0:64 offset1:65
	ds_store_b128 v14, v[0:3] offset:17920
	global_wb scope:SCOPE_SE
	s_wait_dscnt 0x0
	s_barrier_signal -1
	s_barrier_wait -1
	global_inv scope:SCOPE_SE
	s_and_saveexec_b32 s0, vcc_lo
	s_cbranch_execz .LBB0_24
; %bb.22:
	v_mul_lo_u32 v2, s3, v60
	v_mul_lo_u32 v3, s2, v61
	v_mad_co_u64_u32 v[0:1], null, s2, v60, 0
	v_dual_mov_b32 v59, v63 :: v_dual_add_nc_u32 v62, 0xe0, v58
	v_lshl_add_u32 v28, v58, 4, 0
	v_lshlrev_b64_e32 v[18:19], 4, v[56:57]
	s_delay_alu instid0(VALU_DEP_3)
	v_lshlrev_b64_e32 v[20:21], 4, v[58:59]
	v_add3_u32 v1, v1, v3, v2
	ds_load_b128 v[2:5], v28
	ds_load_b128 v[6:9], v28 offset:3584
	v_lshlrev_b64_e32 v[22:23], 4, v[62:63]
	v_add_nc_u32_e32 v62, 0x1c0, v58
	ds_load_b128 v[10:13], v28 offset:7168
	ds_load_b128 v[14:17], v28 offset:10752
	v_lshlrev_b64_e32 v[0:1], 4, v[0:1]
	s_delay_alu instid0(VALU_DEP_1) | instskip(SKIP_1) | instid1(VALU_DEP_2)
	v_add_co_u32 v0, vcc_lo, s6, v0
	s_wait_alu 0xfffd
	v_add_co_ci_u32_e32 v1, vcc_lo, s7, v1, vcc_lo
	s_delay_alu instid0(VALU_DEP_2) | instskip(SKIP_1) | instid1(VALU_DEP_2)
	v_add_co_u32 v0, vcc_lo, v0, v18
	s_wait_alu 0xfffd
	v_add_co_ci_u32_e32 v1, vcc_lo, v1, v19, vcc_lo
	v_lshlrev_b64_e32 v[18:19], 4, v[62:63]
	v_add_nc_u32_e32 v62, 0x2a0, v58
	v_add_co_u32 v20, vcc_lo, v0, v20
	s_wait_alu 0xfffd
	v_add_co_ci_u32_e32 v21, vcc_lo, v1, v21, vcc_lo
	v_add_co_u32 v22, vcc_lo, v0, v22
	v_lshlrev_b64_e32 v[24:25], 4, v[62:63]
	v_add_nc_u32_e32 v62, 0x380, v58
	s_wait_alu 0xfffd
	v_add_co_ci_u32_e32 v23, vcc_lo, v1, v23, vcc_lo
	v_add_co_u32 v18, vcc_lo, v0, v18
	s_wait_alu 0xfffd
	v_add_co_ci_u32_e32 v19, vcc_lo, v1, v19, vcc_lo
	v_lshlrev_b64_e32 v[26:27], 4, v[62:63]
	v_add_nc_u32_e32 v62, 0x460, v58
	v_add_co_u32 v24, vcc_lo, v0, v24
	s_wait_alu 0xfffd
	v_add_co_ci_u32_e32 v25, vcc_lo, v1, v25, vcc_lo
	s_wait_dscnt 0x3
	global_store_b128 v[20:21], v[2:5], off
	s_wait_dscnt 0x2
	global_store_b128 v[22:23], v[6:9], off
	;; [unrolled: 2-line block ×4, first 2 shown]
	v_lshlrev_b64_e32 v[20:21], 4, v[62:63]
	v_add_nc_u32_e32 v62, 0x540, v58
	ds_load_b128 v[2:5], v28 offset:14336
	ds_load_b128 v[6:9], v28 offset:17920
	;; [unrolled: 1-line block ×4, first 2 shown]
	v_add_co_u32 v18, vcc_lo, v0, v26
	s_wait_alu 0xfffd
	v_add_co_ci_u32_e32 v19, vcc_lo, v1, v27, vcc_lo
	v_lshlrev_b64_e32 v[22:23], 4, v[62:63]
	v_add_nc_u32_e32 v62, 0x620, v58
	v_add_co_u32 v20, vcc_lo, v0, v20
	s_wait_alu 0xfffd
	v_add_co_ci_u32_e32 v21, vcc_lo, v1, v21, vcc_lo
	s_delay_alu instid0(VALU_DEP_3) | instskip(SKIP_3) | instid1(VALU_DEP_3)
	v_lshlrev_b64_e32 v[24:25], 4, v[62:63]
	v_add_co_u32 v22, vcc_lo, v0, v22
	s_wait_alu 0xfffd
	v_add_co_ci_u32_e32 v23, vcc_lo, v1, v23, vcc_lo
	v_add_co_u32 v24, vcc_lo, v0, v24
	s_wait_alu 0xfffd
	v_add_co_ci_u32_e32 v25, vcc_lo, v1, v25, vcc_lo
	v_cmp_eq_u32_e32 vcc_lo, 0xdf, v58
	s_wait_dscnt 0x3
	global_store_b128 v[18:19], v[2:5], off
	s_wait_dscnt 0x2
	global_store_b128 v[20:21], v[6:9], off
	;; [unrolled: 2-line block ×4, first 2 shown]
	s_and_b32 exec_lo, exec_lo, vcc_lo
	s_cbranch_execz .LBB0_24
; %bb.23:
	v_mov_b32_e32 v2, 0
	ds_load_b128 v[2:5], v2 offset:28672
	s_wait_dscnt 0x0
	global_store_b128 v[0:1], v[2:5], off offset:28672
.LBB0_24:
	s_nop 0
	s_sendmsg sendmsg(MSG_DEALLOC_VGPRS)
	s_endpgm
	.section	.rodata,"a",@progbits
	.p2align	6, 0x0
	.amdhsa_kernel fft_rtc_fwd_len1792_factors_4_4_4_4_7_wgs_224_tpt_224_halfLds_dp_op_CI_CI_unitstride_sbrr_R2C_dirReg
		.amdhsa_group_segment_fixed_size 0
		.amdhsa_private_segment_fixed_size 0
		.amdhsa_kernarg_size 104
		.amdhsa_user_sgpr_count 2
		.amdhsa_user_sgpr_dispatch_ptr 0
		.amdhsa_user_sgpr_queue_ptr 0
		.amdhsa_user_sgpr_kernarg_segment_ptr 1
		.amdhsa_user_sgpr_dispatch_id 0
		.amdhsa_user_sgpr_private_segment_size 0
		.amdhsa_wavefront_size32 1
		.amdhsa_uses_dynamic_stack 0
		.amdhsa_enable_private_segment 0
		.amdhsa_system_sgpr_workgroup_id_x 1
		.amdhsa_system_sgpr_workgroup_id_y 0
		.amdhsa_system_sgpr_workgroup_id_z 0
		.amdhsa_system_sgpr_workgroup_info 0
		.amdhsa_system_vgpr_workitem_id 0
		.amdhsa_next_free_vgpr 102
		.amdhsa_next_free_sgpr 39
		.amdhsa_reserve_vcc 1
		.amdhsa_float_round_mode_32 0
		.amdhsa_float_round_mode_16_64 0
		.amdhsa_float_denorm_mode_32 3
		.amdhsa_float_denorm_mode_16_64 3
		.amdhsa_fp16_overflow 0
		.amdhsa_workgroup_processor_mode 1
		.amdhsa_memory_ordered 1
		.amdhsa_forward_progress 0
		.amdhsa_round_robin_scheduling 0
		.amdhsa_exception_fp_ieee_invalid_op 0
		.amdhsa_exception_fp_denorm_src 0
		.amdhsa_exception_fp_ieee_div_zero 0
		.amdhsa_exception_fp_ieee_overflow 0
		.amdhsa_exception_fp_ieee_underflow 0
		.amdhsa_exception_fp_ieee_inexact 0
		.amdhsa_exception_int_div_zero 0
	.end_amdhsa_kernel
	.text
.Lfunc_end0:
	.size	fft_rtc_fwd_len1792_factors_4_4_4_4_7_wgs_224_tpt_224_halfLds_dp_op_CI_CI_unitstride_sbrr_R2C_dirReg, .Lfunc_end0-fft_rtc_fwd_len1792_factors_4_4_4_4_7_wgs_224_tpt_224_halfLds_dp_op_CI_CI_unitstride_sbrr_R2C_dirReg
                                        ; -- End function
	.section	.AMDGPU.csdata,"",@progbits
; Kernel info:
; codeLenInByte = 8008
; NumSgprs: 41
; NumVgprs: 102
; ScratchSize: 0
; MemoryBound: 0
; FloatMode: 240
; IeeeMode: 1
; LDSByteSize: 0 bytes/workgroup (compile time only)
; SGPRBlocks: 5
; VGPRBlocks: 12
; NumSGPRsForWavesPerEU: 41
; NumVGPRsForWavesPerEU: 102
; Occupancy: 12
; WaveLimiterHint : 1
; COMPUTE_PGM_RSRC2:SCRATCH_EN: 0
; COMPUTE_PGM_RSRC2:USER_SGPR: 2
; COMPUTE_PGM_RSRC2:TRAP_HANDLER: 0
; COMPUTE_PGM_RSRC2:TGID_X_EN: 1
; COMPUTE_PGM_RSRC2:TGID_Y_EN: 0
; COMPUTE_PGM_RSRC2:TGID_Z_EN: 0
; COMPUTE_PGM_RSRC2:TIDIG_COMP_CNT: 0
	.text
	.p2alignl 7, 3214868480
	.fill 96, 4, 3214868480
	.type	__hip_cuid_7ef47a3adad033b6,@object ; @__hip_cuid_7ef47a3adad033b6
	.section	.bss,"aw",@nobits
	.globl	__hip_cuid_7ef47a3adad033b6
__hip_cuid_7ef47a3adad033b6:
	.byte	0                               ; 0x0
	.size	__hip_cuid_7ef47a3adad033b6, 1

	.ident	"AMD clang version 19.0.0git (https://github.com/RadeonOpenCompute/llvm-project roc-6.4.0 25133 c7fe45cf4b819c5991fe208aaa96edf142730f1d)"
	.section	".note.GNU-stack","",@progbits
	.addrsig
	.addrsig_sym __hip_cuid_7ef47a3adad033b6
	.amdgpu_metadata
---
amdhsa.kernels:
  - .args:
      - .actual_access:  read_only
        .address_space:  global
        .offset:         0
        .size:           8
        .value_kind:     global_buffer
      - .offset:         8
        .size:           8
        .value_kind:     by_value
      - .actual_access:  read_only
        .address_space:  global
        .offset:         16
        .size:           8
        .value_kind:     global_buffer
      - .actual_access:  read_only
        .address_space:  global
        .offset:         24
        .size:           8
        .value_kind:     global_buffer
      - .actual_access:  read_only
        .address_space:  global
        .offset:         32
        .size:           8
        .value_kind:     global_buffer
      - .offset:         40
        .size:           8
        .value_kind:     by_value
      - .actual_access:  read_only
        .address_space:  global
        .offset:         48
        .size:           8
        .value_kind:     global_buffer
      - .actual_access:  read_only
        .address_space:  global
        .offset:         56
        .size:           8
        .value_kind:     global_buffer
      - .offset:         64
        .size:           4
        .value_kind:     by_value
      - .actual_access:  read_only
        .address_space:  global
        .offset:         72
        .size:           8
        .value_kind:     global_buffer
      - .actual_access:  read_only
        .address_space:  global
        .offset:         80
        .size:           8
        .value_kind:     global_buffer
      - .actual_access:  read_only
        .address_space:  global
        .offset:         88
        .size:           8
        .value_kind:     global_buffer
      - .actual_access:  write_only
        .address_space:  global
        .offset:         96
        .size:           8
        .value_kind:     global_buffer
    .group_segment_fixed_size: 0
    .kernarg_segment_align: 8
    .kernarg_segment_size: 104
    .language:       OpenCL C
    .language_version:
      - 2
      - 0
    .max_flat_workgroup_size: 224
    .name:           fft_rtc_fwd_len1792_factors_4_4_4_4_7_wgs_224_tpt_224_halfLds_dp_op_CI_CI_unitstride_sbrr_R2C_dirReg
    .private_segment_fixed_size: 0
    .sgpr_count:     41
    .sgpr_spill_count: 0
    .symbol:         fft_rtc_fwd_len1792_factors_4_4_4_4_7_wgs_224_tpt_224_halfLds_dp_op_CI_CI_unitstride_sbrr_R2C_dirReg.kd
    .uniform_work_group_size: 1
    .uses_dynamic_stack: false
    .vgpr_count:     102
    .vgpr_spill_count: 0
    .wavefront_size: 32
    .workgroup_processor_mode: 1
amdhsa.target:   amdgcn-amd-amdhsa--gfx1201
amdhsa.version:
  - 1
  - 2
...

	.end_amdgpu_metadata
